;; amdgpu-corpus repo=zjin-lcf/HeCBench kind=compiled arch=gfx1100 opt=O3
	.text
	.amdgcn_target "amdgcn-amd-amdhsa--gfx1100"
	.amdhsa_code_object_version 6
	.section	.text._Z12cross_kernelIfiEviPT_PKS0_S3_T0_S4_S4_,"axG",@progbits,_Z12cross_kernelIfiEviPT_PKS0_S3_T0_S4_S4_,comdat
	.protected	_Z12cross_kernelIfiEviPT_PKS0_S3_T0_S4_S4_ ; -- Begin function _Z12cross_kernelIfiEviPT_PKS0_S3_T0_S4_S4_
	.globl	_Z12cross_kernelIfiEviPT_PKS0_S3_T0_S4_S4_
	.p2align	8
	.type	_Z12cross_kernelIfiEviPT_PKS0_S3_T0_S4_S4_,@function
_Z12cross_kernelIfiEviPT_PKS0_S3_T0_S4_S4_: ; @_Z12cross_kernelIfiEviPT_PKS0_S3_T0_S4_S4_
; %bb.0:
	s_clause 0x1
	s_load_b32 s4, s[0:1], 0x3c
	s_load_b32 s14, s[0:1], 0x0
	s_add_u32 s2, s0, 48
	s_addc_u32 s3, s1, 0
	s_waitcnt lgkmcnt(0)
	s_and_b32 s12, s4, 0xffff
	s_mov_b32 s4, exec_lo
	v_mad_u64_u32 v[1:2], null, s15, s12, v[0:1]
	s_delay_alu instid0(VALU_DEP_1)
	v_cmpx_gt_i32_e64 s14, v1
	s_cbranch_execz .LBB0_3
; %bb.1:
	s_load_b128 s[8:11], s[0:1], 0x20
	s_load_b32 s15, s[2:3], 0x0
	s_clause 0x1
	s_load_b128 s[4:7], s[0:1], 0x8
	s_load_b64 s[2:3], s[0:1], 0x18
	v_lshl_add_u32 v2, v1, 1, v1
	s_mov_b32 s1, 0
	s_waitcnt lgkmcnt(0)
	s_ashr_i32 s11, s10, 31
	s_ashr_i32 s17, s9, 31
	s_mov_b32 s16, s9
	s_lshl_b32 s20, s10, 1
	s_lshl_b64 s[10:11], s[10:11], 2
	s_ashr_i32 s9, s8, 31
	s_mul_i32 s15, s15, s12
	s_ashr_i32 s21, s20, 31
	s_lshl_b64 s[12:13], s[16:17], 2
	s_sub_u32 s17, 0, s10
	s_mul_i32 s16, s15, 3
	s_subb_u32 s18, 0, s11
	s_lshl_b64 s[8:9], s[8:9], 2
	s_lshl_b64 s[10:11], s[20:21], 2
.LBB0_2:                                ; =>This Inner Loop Header: Depth=1
	v_ashrrev_i32_e32 v3, 31, v2
	s_delay_alu instid0(VALU_DEP_1) | instskip(SKIP_1) | instid1(VALU_DEP_2)
	v_lshlrev_b64 v[3:4], 2, v[2:3]
	v_add_nc_u32_e32 v2, s16, v2
	v_add_co_u32 v5, vcc_lo, s6, v3
	s_delay_alu instid0(VALU_DEP_3) | instskip(SKIP_2) | instid1(VALU_DEP_4)
	v_add_co_ci_u32_e32 v6, vcc_lo, s7, v4, vcc_lo
	v_add_co_u32 v7, vcc_lo, s2, v3
	v_add_co_ci_u32_e32 v8, vcc_lo, s3, v4, vcc_lo
	v_add_co_u32 v9, vcc_lo, v5, s12
	s_delay_alu instid0(VALU_DEP_4) | instskip(NEXT) | instid1(VALU_DEP_4)
	v_add_co_ci_u32_e32 v10, vcc_lo, s13, v6, vcc_lo
	v_add_co_u32 v11, vcc_lo, v7, s10
	s_delay_alu instid0(VALU_DEP_4)
	v_add_co_ci_u32_e32 v12, vcc_lo, s11, v8, vcc_lo
	global_load_b32 v0, v[9:10], off
	v_add_co_u32 v9, vcc_lo, v9, s12
	v_add_co_ci_u32_e32 v10, vcc_lo, s13, v10, vcc_lo
	v_add_co_u32 v13, vcc_lo, v11, s17
	v_add_co_ci_u32_e32 v14, vcc_lo, s18, v12, vcc_lo
	global_load_b32 v11, v[11:12], off
	s_clause 0x1
	global_load_b32 v9, v[9:10], off
	global_load_b32 v10, v[5:6], off
	s_clause 0x1
	global_load_b32 v12, v[7:8], off
	global_load_b32 v13, v[13:14], off
	v_add_co_u32 v3, vcc_lo, s4, v3
	v_add_co_ci_u32_e32 v4, vcc_lo, s5, v4, vcc_lo
	v_add_nc_u32_e32 v1, s15, v1
	s_delay_alu instid0(VALU_DEP_3) | instskip(NEXT) | instid1(VALU_DEP_1)
	v_add_co_u32 v5, s0, v3, s8
	v_add_co_ci_u32_e64 v6, s0, s9, v4, s0
	s_delay_alu instid0(VALU_DEP_2) | instskip(NEXT) | instid1(VALU_DEP_1)
	v_add_co_u32 v7, s0, v5, s8
	v_add_co_ci_u32_e64 v8, s0, s9, v6, s0
	s_waitcnt vmcnt(1)
	v_dual_mul_f32 v14, v11, v10 :: v_dual_mul_f32 v15, v0, v12
	s_waitcnt vmcnt(0)
	v_mul_f32_e32 v16, v9, v13
	v_cmp_le_i32_e32 vcc_lo, s14, v1
	s_delay_alu instid0(VALU_DEP_3) | instskip(SKIP_1) | instid1(VALU_DEP_4)
	v_fma_f32 v9, v9, v12, -v14
	v_fma_f32 v10, v13, v10, -v15
	;; [unrolled: 1-line block ×3, first 2 shown]
	s_or_b32 s1, vcc_lo, s1
	s_clause 0x2
	global_store_b32 v[3:4], v0, off
	global_store_b32 v[5:6], v9, off
	global_store_b32 v[7:8], v10, off
	s_and_not1_b32 exec_lo, exec_lo, s1
	s_cbranch_execnz .LBB0_2
.LBB0_3:
	s_nop 0
	s_sendmsg sendmsg(MSG_DEALLOC_VGPRS)
	s_endpgm
	.section	.rodata,"a",@progbits
	.p2align	6, 0x0
	.amdhsa_kernel _Z12cross_kernelIfiEviPT_PKS0_S3_T0_S4_S4_
		.amdhsa_group_segment_fixed_size 0
		.amdhsa_private_segment_fixed_size 0
		.amdhsa_kernarg_size 304
		.amdhsa_user_sgpr_count 15
		.amdhsa_user_sgpr_dispatch_ptr 0
		.amdhsa_user_sgpr_queue_ptr 0
		.amdhsa_user_sgpr_kernarg_segment_ptr 1
		.amdhsa_user_sgpr_dispatch_id 0
		.amdhsa_user_sgpr_private_segment_size 0
		.amdhsa_wavefront_size32 1
		.amdhsa_uses_dynamic_stack 0
		.amdhsa_enable_private_segment 0
		.amdhsa_system_sgpr_workgroup_id_x 1
		.amdhsa_system_sgpr_workgroup_id_y 0
		.amdhsa_system_sgpr_workgroup_id_z 0
		.amdhsa_system_sgpr_workgroup_info 0
		.amdhsa_system_vgpr_workitem_id 0
		.amdhsa_next_free_vgpr 17
		.amdhsa_next_free_sgpr 22
		.amdhsa_reserve_vcc 1
		.amdhsa_float_round_mode_32 0
		.amdhsa_float_round_mode_16_64 0
		.amdhsa_float_denorm_mode_32 3
		.amdhsa_float_denorm_mode_16_64 3
		.amdhsa_dx10_clamp 1
		.amdhsa_ieee_mode 1
		.amdhsa_fp16_overflow 0
		.amdhsa_workgroup_processor_mode 1
		.amdhsa_memory_ordered 1
		.amdhsa_forward_progress 0
		.amdhsa_shared_vgpr_count 0
		.amdhsa_exception_fp_ieee_invalid_op 0
		.amdhsa_exception_fp_denorm_src 0
		.amdhsa_exception_fp_ieee_div_zero 0
		.amdhsa_exception_fp_ieee_overflow 0
		.amdhsa_exception_fp_ieee_underflow 0
		.amdhsa_exception_fp_ieee_inexact 0
		.amdhsa_exception_int_div_zero 0
	.end_amdhsa_kernel
	.section	.text._Z12cross_kernelIfiEviPT_PKS0_S3_T0_S4_S4_,"axG",@progbits,_Z12cross_kernelIfiEviPT_PKS0_S3_T0_S4_S4_,comdat
.Lfunc_end0:
	.size	_Z12cross_kernelIfiEviPT_PKS0_S3_T0_S4_S4_, .Lfunc_end0-_Z12cross_kernelIfiEviPT_PKS0_S3_T0_S4_S4_
                                        ; -- End function
	.section	.AMDGPU.csdata,"",@progbits
; Kernel info:
; codeLenInByte = 496
; NumSgprs: 24
; NumVgprs: 17
; ScratchSize: 0
; MemoryBound: 0
; FloatMode: 240
; IeeeMode: 1
; LDSByteSize: 0 bytes/workgroup (compile time only)
; SGPRBlocks: 2
; VGPRBlocks: 2
; NumSGPRsForWavesPerEU: 24
; NumVGPRsForWavesPerEU: 17
; Occupancy: 16
; WaveLimiterHint : 0
; COMPUTE_PGM_RSRC2:SCRATCH_EN: 0
; COMPUTE_PGM_RSRC2:USER_SGPR: 15
; COMPUTE_PGM_RSRC2:TRAP_HANDLER: 0
; COMPUTE_PGM_RSRC2:TGID_X_EN: 1
; COMPUTE_PGM_RSRC2:TGID_Y_EN: 0
; COMPUTE_PGM_RSRC2:TGID_Z_EN: 0
; COMPUTE_PGM_RSRC2:TIDIG_COMP_CNT: 0
	.section	.text._Z13cross2_kernelIfiEviPT_PKS0_S3_T0_S4_S4_,"axG",@progbits,_Z13cross2_kernelIfiEviPT_PKS0_S3_T0_S4_S4_,comdat
	.protected	_Z13cross2_kernelIfiEviPT_PKS0_S3_T0_S4_S4_ ; -- Begin function _Z13cross2_kernelIfiEviPT_PKS0_S3_T0_S4_S4_
	.globl	_Z13cross2_kernelIfiEviPT_PKS0_S3_T0_S4_S4_
	.p2align	8
	.type	_Z13cross2_kernelIfiEviPT_PKS0_S3_T0_S4_S4_,@function
_Z13cross2_kernelIfiEviPT_PKS0_S3_T0_S4_S4_: ; @_Z13cross2_kernelIfiEviPT_PKS0_S3_T0_S4_S4_
; %bb.0:
	s_clause 0x1
	s_load_b32 s4, s[0:1], 0x3c
	s_load_b32 s14, s[0:1], 0x0
	s_add_u32 s2, s0, 48
	s_addc_u32 s3, s1, 0
	s_waitcnt lgkmcnt(0)
	s_and_b32 s8, s4, 0xffff
	s_mov_b32 s4, exec_lo
	v_mad_u64_u32 v[1:2], null, s15, s8, v[0:1]
	s_delay_alu instid0(VALU_DEP_1)
	v_cmpx_gt_i32_e64 s14, v1
	s_cbranch_execz .LBB1_3
; %bb.1:
	s_load_b128 s[16:19], s[0:1], 0x20
	s_load_b32 s9, s[2:3], 0x0
	s_clause 0x1
	s_load_b128 s[4:7], s[0:1], 0x8
	s_load_b64 s[2:3], s[0:1], 0x18
	v_lshl_add_u32 v2, v1, 1, v1
	s_waitcnt lgkmcnt(0)
	s_ashr_i32 s11, s17, 31
	s_mov_b32 s10, s17
	s_ashr_i32 s19, s18, 31
	s_ashr_i32 s17, s16, 31
	s_mul_i32 s1, s9, s8
	s_lshl_b64 s[8:9], s[10:11], 2
	s_lshl_b64 s[10:11], s[18:19], 2
	;; [unrolled: 1-line block ×3, first 2 shown]
	s_mul_i32 s15, s1, 3
	s_mov_b32 s16, 0
.LBB1_2:                                ; =>This Inner Loop Header: Depth=1
	v_ashrrev_i32_e32 v3, 31, v2
	s_delay_alu instid0(VALU_DEP_1) | instskip(SKIP_1) | instid1(VALU_DEP_2)
	v_lshlrev_b64 v[3:4], 2, v[2:3]
	v_add_nc_u32_e32 v2, s15, v2
	v_add_co_u32 v5, vcc_lo, s6, v3
	s_delay_alu instid0(VALU_DEP_3)
	v_add_co_ci_u32_e32 v6, vcc_lo, s7, v4, vcc_lo
	v_add_co_u32 v7, vcc_lo, s2, v3
	v_add_co_ci_u32_e32 v8, vcc_lo, s3, v4, vcc_lo
	global_load_b32 v0, v[5:6], off
	v_add_co_u32 v5, vcc_lo, v5, s8
	v_add_co_ci_u32_e32 v6, vcc_lo, s9, v6, vcc_lo
	v_add_co_u32 v9, vcc_lo, v7, s10
	v_add_co_ci_u32_e32 v10, vcc_lo, s11, v8, vcc_lo
	s_delay_alu instid0(VALU_DEP_4) | instskip(NEXT) | instid1(VALU_DEP_4)
	v_add_co_u32 v11, vcc_lo, v5, s8
	v_add_co_ci_u32_e32 v12, vcc_lo, s9, v6, vcc_lo
	s_delay_alu instid0(VALU_DEP_4) | instskip(NEXT) | instid1(VALU_DEP_4)
	v_add_co_u32 v13, vcc_lo, v9, s10
	v_add_co_ci_u32_e32 v14, vcc_lo, s11, v10, vcc_lo
	s_clause 0x1
	global_load_b32 v15, v[5:6], off
	global_load_b32 v11, v[11:12], off
	s_clause 0x2
	global_load_b32 v12, v[7:8], off
	global_load_b32 v9, v[9:10], off
	global_load_b32 v10, v[13:14], off
	v_add_co_u32 v3, vcc_lo, s4, v3
	v_add_co_ci_u32_e32 v4, vcc_lo, s5, v4, vcc_lo
	v_add_nc_u32_e32 v1, s1, v1
	s_delay_alu instid0(VALU_DEP_3) | instskip(NEXT) | instid1(VALU_DEP_1)
	v_add_co_u32 v5, s0, v3, s12
	v_add_co_ci_u32_e64 v6, s0, s13, v4, s0
	s_delay_alu instid0(VALU_DEP_2) | instskip(NEXT) | instid1(VALU_DEP_1)
	v_add_co_u32 v7, s0, v5, s12
	v_add_co_ci_u32_e64 v8, s0, s13, v6, s0
	s_waitcnt vmcnt(2)
	v_mul_f32_e32 v13, v15, v12
	s_waitcnt vmcnt(1)
	v_mul_f32_e32 v14, v11, v9
	;; [unrolled: 2-line block ×3, first 2 shown]
	v_cmp_le_i32_e32 vcc_lo, s14, v1
	v_fma_f32 v0, v0, v9, -v13
	v_fma_f32 v10, v15, v10, -v14
	s_delay_alu instid0(VALU_DEP_4)
	v_fma_f32 v11, v11, v12, -v16
	s_or_b32 s16, vcc_lo, s16
	s_clause 0x2
	global_store_b32 v[3:4], v10, off
	global_store_b32 v[5:6], v11, off
	;; [unrolled: 1-line block ×3, first 2 shown]
	s_and_not1_b32 exec_lo, exec_lo, s16
	s_cbranch_execnz .LBB1_2
.LBB1_3:
	s_nop 0
	s_sendmsg sendmsg(MSG_DEALLOC_VGPRS)
	s_endpgm
	.section	.rodata,"a",@progbits
	.p2align	6, 0x0
	.amdhsa_kernel _Z13cross2_kernelIfiEviPT_PKS0_S3_T0_S4_S4_
		.amdhsa_group_segment_fixed_size 0
		.amdhsa_private_segment_fixed_size 0
		.amdhsa_kernarg_size 304
		.amdhsa_user_sgpr_count 15
		.amdhsa_user_sgpr_dispatch_ptr 0
		.amdhsa_user_sgpr_queue_ptr 0
		.amdhsa_user_sgpr_kernarg_segment_ptr 1
		.amdhsa_user_sgpr_dispatch_id 0
		.amdhsa_user_sgpr_private_segment_size 0
		.amdhsa_wavefront_size32 1
		.amdhsa_uses_dynamic_stack 0
		.amdhsa_enable_private_segment 0
		.amdhsa_system_sgpr_workgroup_id_x 1
		.amdhsa_system_sgpr_workgroup_id_y 0
		.amdhsa_system_sgpr_workgroup_id_z 0
		.amdhsa_system_sgpr_workgroup_info 0
		.amdhsa_system_vgpr_workitem_id 0
		.amdhsa_next_free_vgpr 17
		.amdhsa_next_free_sgpr 20
		.amdhsa_reserve_vcc 1
		.amdhsa_float_round_mode_32 0
		.amdhsa_float_round_mode_16_64 0
		.amdhsa_float_denorm_mode_32 3
		.amdhsa_float_denorm_mode_16_64 3
		.amdhsa_dx10_clamp 1
		.amdhsa_ieee_mode 1
		.amdhsa_fp16_overflow 0
		.amdhsa_workgroup_processor_mode 1
		.amdhsa_memory_ordered 1
		.amdhsa_forward_progress 0
		.amdhsa_shared_vgpr_count 0
		.amdhsa_exception_fp_ieee_invalid_op 0
		.amdhsa_exception_fp_denorm_src 0
		.amdhsa_exception_fp_ieee_div_zero 0
		.amdhsa_exception_fp_ieee_overflow 0
		.amdhsa_exception_fp_ieee_underflow 0
		.amdhsa_exception_fp_ieee_inexact 0
		.amdhsa_exception_int_div_zero 0
	.end_amdhsa_kernel
	.section	.text._Z13cross2_kernelIfiEviPT_PKS0_S3_T0_S4_S4_,"axG",@progbits,_Z13cross2_kernelIfiEviPT_PKS0_S3_T0_S4_S4_,comdat
.Lfunc_end1:
	.size	_Z13cross2_kernelIfiEviPT_PKS0_S3_T0_S4_S4_, .Lfunc_end1-_Z13cross2_kernelIfiEviPT_PKS0_S3_T0_S4_S4_
                                        ; -- End function
	.section	.AMDGPU.csdata,"",@progbits
; Kernel info:
; codeLenInByte = 480
; NumSgprs: 22
; NumVgprs: 17
; ScratchSize: 0
; MemoryBound: 0
; FloatMode: 240
; IeeeMode: 1
; LDSByteSize: 0 bytes/workgroup (compile time only)
; SGPRBlocks: 2
; VGPRBlocks: 2
; NumSGPRsForWavesPerEU: 22
; NumVGPRsForWavesPerEU: 17
; Occupancy: 16
; WaveLimiterHint : 0
; COMPUTE_PGM_RSRC2:SCRATCH_EN: 0
; COMPUTE_PGM_RSRC2:USER_SGPR: 15
; COMPUTE_PGM_RSRC2:TRAP_HANDLER: 0
; COMPUTE_PGM_RSRC2:TGID_X_EN: 1
; COMPUTE_PGM_RSRC2:TGID_Y_EN: 0
; COMPUTE_PGM_RSRC2:TGID_Z_EN: 0
; COMPUTE_PGM_RSRC2:TIDIG_COMP_CNT: 0
	.section	.text._Z13cross3_kernelIfEviPT_PKS0_S3_,"axG",@progbits,_Z13cross3_kernelIfEviPT_PKS0_S3_,comdat
	.protected	_Z13cross3_kernelIfEviPT_PKS0_S3_ ; -- Begin function _Z13cross3_kernelIfEviPT_PKS0_S3_
	.globl	_Z13cross3_kernelIfEviPT_PKS0_S3_
	.p2align	8
	.type	_Z13cross3_kernelIfEviPT_PKS0_S3_,@function
_Z13cross3_kernelIfEviPT_PKS0_S3_:      ; @_Z13cross3_kernelIfEviPT_PKS0_S3_
; %bb.0:
	s_clause 0x1
	s_load_b32 s4, s[0:1], 0x2c
	s_load_b32 s8, s[0:1], 0x0
	s_add_u32 s2, s0, 32
	s_addc_u32 s3, s1, 0
	s_waitcnt lgkmcnt(0)
	s_and_b32 s9, s4, 0xffff
	s_mov_b32 s4, exec_lo
	v_mad_u64_u32 v[1:2], null, s15, s9, v[0:1]
	s_delay_alu instid0(VALU_DEP_1)
	v_cmpx_gt_i32_e64 s8, v1
	s_cbranch_execz .LBB2_3
; %bb.1:
	s_load_b32 s10, s[2:3], 0x0
	s_clause 0x1
	s_load_b128 s[4:7], s[0:1], 0x8
	s_load_b64 s[2:3], s[0:1], 0x18
	v_lshl_add_u32 v2, v1, 1, v1
	s_waitcnt lgkmcnt(0)
	s_mul_i32 s1, s10, s9
	s_mov_b32 s10, 0
	s_mul_i32 s9, s1, 3
	s_set_inst_prefetch_distance 0x1
	.p2align	6
.LBB2_2:                                ; =>This Inner Loop Header: Depth=1
	v_ashrrev_i32_e32 v3, 31, v2
	s_delay_alu instid0(VALU_DEP_1) | instskip(SKIP_1) | instid1(VALU_DEP_2)
	v_lshlrev_b64 v[9:10], 2, v[2:3]
	v_add_nc_u32_e32 v2, s9, v2
	v_add_co_u32 v3, vcc_lo, s6, v9
	s_delay_alu instid0(VALU_DEP_3)
	v_add_co_ci_u32_e32 v4, vcc_lo, s7, v10, vcc_lo
	v_add_co_u32 v6, vcc_lo, s2, v9
	v_add_co_ci_u32_e32 v7, vcc_lo, s3, v10, vcc_lo
	v_add_co_u32 v9, s0, s4, v9
	global_load_b96 v[3:5], v[3:4], off
	global_load_b96 v[6:8], v[6:7], off
	v_add_nc_u32_e32 v1, s1, v1
	v_add_co_ci_u32_e64 v10, s0, s5, v10, s0
	s_waitcnt vmcnt(0)
	v_dual_mul_f32 v0, v5, v7 :: v_dual_mul_f32 v11, v3, v8
	v_mul_f32_e32 v12, v4, v6
	v_cmp_le_i32_e32 vcc_lo, s8, v1
	s_delay_alu instid0(VALU_DEP_3) | instskip(NEXT) | instid1(VALU_DEP_4)
	v_fma_f32 v4, v4, v8, -v0
	v_fma_f32 v5, v5, v6, -v11
	s_delay_alu instid0(VALU_DEP_4)
	v_fma_f32 v6, v3, v7, -v12
	s_or_b32 s10, vcc_lo, s10
	global_store_b96 v[9:10], v[4:6], off
	s_and_not1_b32 exec_lo, exec_lo, s10
	s_cbranch_execnz .LBB2_2
.LBB2_3:
	s_set_inst_prefetch_distance 0x2
	s_nop 0
	s_sendmsg sendmsg(MSG_DEALLOC_VGPRS)
	s_endpgm
	.section	.rodata,"a",@progbits
	.p2align	6, 0x0
	.amdhsa_kernel _Z13cross3_kernelIfEviPT_PKS0_S3_
		.amdhsa_group_segment_fixed_size 0
		.amdhsa_private_segment_fixed_size 0
		.amdhsa_kernarg_size 288
		.amdhsa_user_sgpr_count 15
		.amdhsa_user_sgpr_dispatch_ptr 0
		.amdhsa_user_sgpr_queue_ptr 0
		.amdhsa_user_sgpr_kernarg_segment_ptr 1
		.amdhsa_user_sgpr_dispatch_id 0
		.amdhsa_user_sgpr_private_segment_size 0
		.amdhsa_wavefront_size32 1
		.amdhsa_uses_dynamic_stack 0
		.amdhsa_enable_private_segment 0
		.amdhsa_system_sgpr_workgroup_id_x 1
		.amdhsa_system_sgpr_workgroup_id_y 0
		.amdhsa_system_sgpr_workgroup_id_z 0
		.amdhsa_system_sgpr_workgroup_info 0
		.amdhsa_system_vgpr_workitem_id 0
		.amdhsa_next_free_vgpr 13
		.amdhsa_next_free_sgpr 16
		.amdhsa_reserve_vcc 1
		.amdhsa_float_round_mode_32 0
		.amdhsa_float_round_mode_16_64 0
		.amdhsa_float_denorm_mode_32 3
		.amdhsa_float_denorm_mode_16_64 3
		.amdhsa_dx10_clamp 1
		.amdhsa_ieee_mode 1
		.amdhsa_fp16_overflow 0
		.amdhsa_workgroup_processor_mode 1
		.amdhsa_memory_ordered 1
		.amdhsa_forward_progress 0
		.amdhsa_shared_vgpr_count 0
		.amdhsa_exception_fp_ieee_invalid_op 0
		.amdhsa_exception_fp_denorm_src 0
		.amdhsa_exception_fp_ieee_div_zero 0
		.amdhsa_exception_fp_ieee_overflow 0
		.amdhsa_exception_fp_ieee_underflow 0
		.amdhsa_exception_fp_ieee_inexact 0
		.amdhsa_exception_int_div_zero 0
	.end_amdhsa_kernel
	.section	.text._Z13cross3_kernelIfEviPT_PKS0_S3_,"axG",@progbits,_Z13cross3_kernelIfEviPT_PKS0_S3_,comdat
.Lfunc_end2:
	.size	_Z13cross3_kernelIfEviPT_PKS0_S3_, .Lfunc_end2-_Z13cross3_kernelIfEviPT_PKS0_S3_
                                        ; -- End function
	.section	.AMDGPU.csdata,"",@progbits
; Kernel info:
; codeLenInByte = 296
; NumSgprs: 18
; NumVgprs: 13
; ScratchSize: 0
; MemoryBound: 0
; FloatMode: 240
; IeeeMode: 1
; LDSByteSize: 0 bytes/workgroup (compile time only)
; SGPRBlocks: 2
; VGPRBlocks: 1
; NumSGPRsForWavesPerEU: 18
; NumVGPRsForWavesPerEU: 13
; Occupancy: 16
; WaveLimiterHint : 0
; COMPUTE_PGM_RSRC2:SCRATCH_EN: 0
; COMPUTE_PGM_RSRC2:USER_SGPR: 15
; COMPUTE_PGM_RSRC2:TRAP_HANDLER: 0
; COMPUTE_PGM_RSRC2:TGID_X_EN: 1
; COMPUTE_PGM_RSRC2:TGID_Y_EN: 0
; COMPUTE_PGM_RSRC2:TGID_Z_EN: 0
; COMPUTE_PGM_RSRC2:TIDIG_COMP_CNT: 0
	.section	.text._Z12cross_kernelIdiEviPT_PKS0_S3_T0_S4_S4_,"axG",@progbits,_Z12cross_kernelIdiEviPT_PKS0_S3_T0_S4_S4_,comdat
	.protected	_Z12cross_kernelIdiEviPT_PKS0_S3_T0_S4_S4_ ; -- Begin function _Z12cross_kernelIdiEviPT_PKS0_S3_T0_S4_S4_
	.globl	_Z12cross_kernelIdiEviPT_PKS0_S3_T0_S4_S4_
	.p2align	8
	.type	_Z12cross_kernelIdiEviPT_PKS0_S3_T0_S4_S4_,@function
_Z12cross_kernelIdiEviPT_PKS0_S3_T0_S4_S4_: ; @_Z12cross_kernelIdiEviPT_PKS0_S3_T0_S4_S4_
; %bb.0:
	s_clause 0x1
	s_load_b32 s4, s[0:1], 0x3c
	s_load_b32 s14, s[0:1], 0x0
	s_add_u32 s2, s0, 48
	s_addc_u32 s3, s1, 0
	s_waitcnt lgkmcnt(0)
	s_and_b32 s12, s4, 0xffff
	s_mov_b32 s4, exec_lo
	v_mad_u64_u32 v[1:2], null, s15, s12, v[0:1]
	s_delay_alu instid0(VALU_DEP_1)
	v_cmpx_gt_i32_e64 s14, v1
	s_cbranch_execz .LBB3_3
; %bb.1:
	s_load_b128 s[8:11], s[0:1], 0x20
	s_load_b32 s15, s[2:3], 0x0
	s_clause 0x1
	s_load_b128 s[4:7], s[0:1], 0x8
	s_load_b64 s[2:3], s[0:1], 0x18
	v_lshl_add_u32 v2, v1, 1, v1
	s_mov_b32 s1, 0
	s_waitcnt lgkmcnt(0)
	s_ashr_i32 s11, s10, 31
	s_ashr_i32 s17, s9, 31
	s_mov_b32 s16, s9
	s_lshl_b32 s20, s10, 1
	s_lshl_b64 s[10:11], s[10:11], 3
	s_ashr_i32 s9, s8, 31
	s_mul_i32 s15, s15, s12
	s_ashr_i32 s21, s20, 31
	s_lshl_b64 s[12:13], s[16:17], 3
	s_sub_u32 s17, 0, s10
	s_mul_i32 s16, s15, 3
	s_subb_u32 s18, 0, s11
	s_lshl_b64 s[8:9], s[8:9], 3
	s_lshl_b64 s[10:11], s[20:21], 3
.LBB3_2:                                ; =>This Inner Loop Header: Depth=1
	v_ashrrev_i32_e32 v3, 31, v2
	v_add_nc_u32_e32 v1, s15, v1
	s_delay_alu instid0(VALU_DEP_2) | instskip(SKIP_1) | instid1(VALU_DEP_2)
	v_lshlrev_b64 v[3:4], 3, v[2:3]
	v_add_nc_u32_e32 v2, s16, v2
	v_add_co_u32 v5, vcc_lo, s6, v3
	s_delay_alu instid0(VALU_DEP_3) | instskip(SKIP_2) | instid1(VALU_DEP_4)
	v_add_co_ci_u32_e32 v6, vcc_lo, s7, v4, vcc_lo
	v_add_co_u32 v7, vcc_lo, s2, v3
	v_add_co_ci_u32_e32 v8, vcc_lo, s3, v4, vcc_lo
	v_add_co_u32 v9, vcc_lo, v5, s12
	s_delay_alu instid0(VALU_DEP_4) | instskip(NEXT) | instid1(VALU_DEP_4)
	v_add_co_ci_u32_e32 v10, vcc_lo, s13, v6, vcc_lo
	v_add_co_u32 v11, vcc_lo, v7, s10
	s_delay_alu instid0(VALU_DEP_4) | instskip(NEXT) | instid1(VALU_DEP_4)
	;; [unrolled: 3-line block ×3, first 2 shown]
	v_add_co_ci_u32_e32 v14, vcc_lo, s13, v10, vcc_lo
	v_add_co_u32 v15, vcc_lo, v11, s17
	s_delay_alu instid0(VALU_DEP_4)
	v_add_co_ci_u32_e32 v16, vcc_lo, s18, v12, vcc_lo
	global_load_b64 v[11:12], v[11:12], off
	global_load_b64 v[13:14], v[13:14], off
	s_clause 0x1
	global_load_b64 v[15:16], v[15:16], off
	global_load_b64 v[7:8], v[7:8], off
	s_clause 0x1
	global_load_b64 v[5:6], v[5:6], off
	global_load_b64 v[9:10], v[9:10], off
	v_add_co_u32 v3, vcc_lo, s4, v3
	v_add_co_ci_u32_e32 v4, vcc_lo, s5, v4, vcc_lo
	s_waitcnt vmcnt(3)
	v_mul_f64 v[17:18], v[13:14], v[15:16]
	s_waitcnt vmcnt(1)
	v_mul_f64 v[19:20], v[11:12], v[5:6]
	;; [unrolled: 2-line block ×3, first 2 shown]
	s_delay_alu instid0(VALU_DEP_3) | instskip(SKIP_1) | instid1(VALU_DEP_4)
	v_fma_f64 v[9:10], v[9:10], v[11:12], -v[17:18]
	v_add_co_u32 v11, vcc_lo, v3, s8
	v_fma_f64 v[7:8], v[13:14], v[7:8], -v[19:20]
	s_delay_alu instid0(VALU_DEP_4) | instskip(SKIP_3) | instid1(VALU_DEP_1)
	v_fma_f64 v[5:6], v[15:16], v[5:6], -v[21:22]
	v_add_co_ci_u32_e32 v12, vcc_lo, s9, v4, vcc_lo
	v_cmp_le_i32_e32 vcc_lo, s14, v1
	v_add_co_u32 v13, s0, v11, s8
	v_add_co_ci_u32_e64 v14, s0, s9, v12, s0
	s_or_b32 s1, vcc_lo, s1
	s_clause 0x2
	global_store_b64 v[3:4], v[9:10], off
	global_store_b64 v[11:12], v[7:8], off
	;; [unrolled: 1-line block ×3, first 2 shown]
	s_and_not1_b32 exec_lo, exec_lo, s1
	s_cbranch_execnz .LBB3_2
.LBB3_3:
	s_nop 0
	s_sendmsg sendmsg(MSG_DEALLOC_VGPRS)
	s_endpgm
	.section	.rodata,"a",@progbits
	.p2align	6, 0x0
	.amdhsa_kernel _Z12cross_kernelIdiEviPT_PKS0_S3_T0_S4_S4_
		.amdhsa_group_segment_fixed_size 0
		.amdhsa_private_segment_fixed_size 0
		.amdhsa_kernarg_size 304
		.amdhsa_user_sgpr_count 15
		.amdhsa_user_sgpr_dispatch_ptr 0
		.amdhsa_user_sgpr_queue_ptr 0
		.amdhsa_user_sgpr_kernarg_segment_ptr 1
		.amdhsa_user_sgpr_dispatch_id 0
		.amdhsa_user_sgpr_private_segment_size 0
		.amdhsa_wavefront_size32 1
		.amdhsa_uses_dynamic_stack 0
		.amdhsa_enable_private_segment 0
		.amdhsa_system_sgpr_workgroup_id_x 1
		.amdhsa_system_sgpr_workgroup_id_y 0
		.amdhsa_system_sgpr_workgroup_id_z 0
		.amdhsa_system_sgpr_workgroup_info 0
		.amdhsa_system_vgpr_workitem_id 0
		.amdhsa_next_free_vgpr 23
		.amdhsa_next_free_sgpr 22
		.amdhsa_reserve_vcc 1
		.amdhsa_float_round_mode_32 0
		.amdhsa_float_round_mode_16_64 0
		.amdhsa_float_denorm_mode_32 3
		.amdhsa_float_denorm_mode_16_64 3
		.amdhsa_dx10_clamp 1
		.amdhsa_ieee_mode 1
		.amdhsa_fp16_overflow 0
		.amdhsa_workgroup_processor_mode 1
		.amdhsa_memory_ordered 1
		.amdhsa_forward_progress 0
		.amdhsa_shared_vgpr_count 0
		.amdhsa_exception_fp_ieee_invalid_op 0
		.amdhsa_exception_fp_denorm_src 0
		.amdhsa_exception_fp_ieee_div_zero 0
		.amdhsa_exception_fp_ieee_overflow 0
		.amdhsa_exception_fp_ieee_underflow 0
		.amdhsa_exception_fp_ieee_inexact 0
		.amdhsa_exception_int_div_zero 0
	.end_amdhsa_kernel
	.section	.text._Z12cross_kernelIdiEviPT_PKS0_S3_T0_S4_S4_,"axG",@progbits,_Z12cross_kernelIdiEviPT_PKS0_S3_T0_S4_S4_,comdat
.Lfunc_end3:
	.size	_Z12cross_kernelIdiEviPT_PKS0_S3_T0_S4_S4_, .Lfunc_end3-_Z12cross_kernelIdiEviPT_PKS0_S3_T0_S4_S4_
                                        ; -- End function
	.section	.AMDGPU.csdata,"",@progbits
; Kernel info:
; codeLenInByte = 512
; NumSgprs: 24
; NumVgprs: 23
; ScratchSize: 0
; MemoryBound: 0
; FloatMode: 240
; IeeeMode: 1
; LDSByteSize: 0 bytes/workgroup (compile time only)
; SGPRBlocks: 2
; VGPRBlocks: 2
; NumSGPRsForWavesPerEU: 24
; NumVGPRsForWavesPerEU: 23
; Occupancy: 16
; WaveLimiterHint : 0
; COMPUTE_PGM_RSRC2:SCRATCH_EN: 0
; COMPUTE_PGM_RSRC2:USER_SGPR: 15
; COMPUTE_PGM_RSRC2:TRAP_HANDLER: 0
; COMPUTE_PGM_RSRC2:TGID_X_EN: 1
; COMPUTE_PGM_RSRC2:TGID_Y_EN: 0
; COMPUTE_PGM_RSRC2:TGID_Z_EN: 0
; COMPUTE_PGM_RSRC2:TIDIG_COMP_CNT: 0
	.section	.text._Z13cross2_kernelIdiEviPT_PKS0_S3_T0_S4_S4_,"axG",@progbits,_Z13cross2_kernelIdiEviPT_PKS0_S3_T0_S4_S4_,comdat
	.protected	_Z13cross2_kernelIdiEviPT_PKS0_S3_T0_S4_S4_ ; -- Begin function _Z13cross2_kernelIdiEviPT_PKS0_S3_T0_S4_S4_
	.globl	_Z13cross2_kernelIdiEviPT_PKS0_S3_T0_S4_S4_
	.p2align	8
	.type	_Z13cross2_kernelIdiEviPT_PKS0_S3_T0_S4_S4_,@function
_Z13cross2_kernelIdiEviPT_PKS0_S3_T0_S4_S4_: ; @_Z13cross2_kernelIdiEviPT_PKS0_S3_T0_S4_S4_
; %bb.0:
	s_clause 0x1
	s_load_b32 s4, s[0:1], 0x3c
	s_load_b32 s14, s[0:1], 0x0
	s_add_u32 s2, s0, 48
	s_addc_u32 s3, s1, 0
	s_waitcnt lgkmcnt(0)
	s_and_b32 s8, s4, 0xffff
	s_mov_b32 s4, exec_lo
	v_mad_u64_u32 v[1:2], null, s15, s8, v[0:1]
	s_delay_alu instid0(VALU_DEP_1)
	v_cmpx_gt_i32_e64 s14, v1
	s_cbranch_execz .LBB4_3
; %bb.1:
	s_load_b128 s[16:19], s[0:1], 0x20
	s_load_b32 s9, s[2:3], 0x0
	s_clause 0x1
	s_load_b128 s[4:7], s[0:1], 0x8
	s_load_b64 s[2:3], s[0:1], 0x18
	v_lshl_add_u32 v2, v1, 1, v1
	s_waitcnt lgkmcnt(0)
	s_ashr_i32 s11, s17, 31
	s_mov_b32 s10, s17
	s_ashr_i32 s19, s18, 31
	s_ashr_i32 s17, s16, 31
	s_mul_i32 s1, s9, s8
	s_lshl_b64 s[8:9], s[10:11], 3
	s_lshl_b64 s[10:11], s[18:19], 3
	;; [unrolled: 1-line block ×3, first 2 shown]
	s_mul_i32 s15, s1, 3
	s_mov_b32 s16, 0
.LBB4_2:                                ; =>This Inner Loop Header: Depth=1
	v_ashrrev_i32_e32 v3, 31, v2
	v_add_nc_u32_e32 v1, s1, v1
	s_delay_alu instid0(VALU_DEP_2) | instskip(SKIP_1) | instid1(VALU_DEP_2)
	v_lshlrev_b64 v[3:4], 3, v[2:3]
	v_add_nc_u32_e32 v2, s15, v2
	v_add_co_u32 v5, vcc_lo, s6, v3
	s_delay_alu instid0(VALU_DEP_3) | instskip(SKIP_2) | instid1(VALU_DEP_4)
	v_add_co_ci_u32_e32 v6, vcc_lo, s7, v4, vcc_lo
	v_add_co_u32 v7, vcc_lo, s2, v3
	v_add_co_ci_u32_e32 v8, vcc_lo, s3, v4, vcc_lo
	v_add_co_u32 v9, vcc_lo, v5, s8
	s_delay_alu instid0(VALU_DEP_4) | instskip(NEXT) | instid1(VALU_DEP_4)
	v_add_co_ci_u32_e32 v10, vcc_lo, s9, v6, vcc_lo
	v_add_co_u32 v11, vcc_lo, v7, s10
	s_delay_alu instid0(VALU_DEP_4) | instskip(NEXT) | instid1(VALU_DEP_4)
	;; [unrolled: 3-line block ×3, first 2 shown]
	v_add_co_ci_u32_e32 v14, vcc_lo, s9, v10, vcc_lo
	v_add_co_u32 v15, vcc_lo, v11, s10
	s_delay_alu instid0(VALU_DEP_4)
	v_add_co_ci_u32_e32 v16, vcc_lo, s11, v12, vcc_lo
	s_clause 0x2
	global_load_b64 v[5:6], v[5:6], off
	global_load_b64 v[9:10], v[9:10], off
	;; [unrolled: 1-line block ×3, first 2 shown]
	s_clause 0x2
	global_load_b64 v[11:12], v[11:12], off
	global_load_b64 v[15:16], v[15:16], off
	;; [unrolled: 1-line block ×3, first 2 shown]
	v_add_co_u32 v3, vcc_lo, s4, v3
	v_add_co_ci_u32_e32 v4, vcc_lo, s5, v4, vcc_lo
	s_waitcnt vmcnt(2)
	v_mul_f64 v[17:18], v[13:14], v[11:12]
	s_waitcnt vmcnt(1)
	v_mul_f64 v[19:20], v[5:6], v[15:16]
	;; [unrolled: 2-line block ×3, first 2 shown]
	s_delay_alu instid0(VALU_DEP_3) | instskip(NEXT) | instid1(VALU_DEP_3)
	v_fma_f64 v[9:10], v[9:10], v[15:16], -v[17:18]
	v_fma_f64 v[7:8], v[13:14], v[7:8], -v[19:20]
	s_delay_alu instid0(VALU_DEP_3) | instskip(SKIP_3) | instid1(VALU_DEP_3)
	v_fma_f64 v[5:6], v[5:6], v[11:12], -v[21:22]
	v_add_co_u32 v11, vcc_lo, v3, s12
	v_add_co_ci_u32_e32 v12, vcc_lo, s13, v4, vcc_lo
	v_cmp_le_i32_e32 vcc_lo, s14, v1
	v_add_co_u32 v13, s0, v11, s12
	s_delay_alu instid0(VALU_DEP_1)
	v_add_co_ci_u32_e64 v14, s0, s13, v12, s0
	s_or_b32 s16, vcc_lo, s16
	s_clause 0x2
	global_store_b64 v[3:4], v[9:10], off
	global_store_b64 v[11:12], v[7:8], off
	;; [unrolled: 1-line block ×3, first 2 shown]
	s_and_not1_b32 exec_lo, exec_lo, s16
	s_cbranch_execnz .LBB4_2
.LBB4_3:
	s_nop 0
	s_sendmsg sendmsg(MSG_DEALLOC_VGPRS)
	s_endpgm
	.section	.rodata,"a",@progbits
	.p2align	6, 0x0
	.amdhsa_kernel _Z13cross2_kernelIdiEviPT_PKS0_S3_T0_S4_S4_
		.amdhsa_group_segment_fixed_size 0
		.amdhsa_private_segment_fixed_size 0
		.amdhsa_kernarg_size 304
		.amdhsa_user_sgpr_count 15
		.amdhsa_user_sgpr_dispatch_ptr 0
		.amdhsa_user_sgpr_queue_ptr 0
		.amdhsa_user_sgpr_kernarg_segment_ptr 1
		.amdhsa_user_sgpr_dispatch_id 0
		.amdhsa_user_sgpr_private_segment_size 0
		.amdhsa_wavefront_size32 1
		.amdhsa_uses_dynamic_stack 0
		.amdhsa_enable_private_segment 0
		.amdhsa_system_sgpr_workgroup_id_x 1
		.amdhsa_system_sgpr_workgroup_id_y 0
		.amdhsa_system_sgpr_workgroup_id_z 0
		.amdhsa_system_sgpr_workgroup_info 0
		.amdhsa_system_vgpr_workitem_id 0
		.amdhsa_next_free_vgpr 23
		.amdhsa_next_free_sgpr 20
		.amdhsa_reserve_vcc 1
		.amdhsa_float_round_mode_32 0
		.amdhsa_float_round_mode_16_64 0
		.amdhsa_float_denorm_mode_32 3
		.amdhsa_float_denorm_mode_16_64 3
		.amdhsa_dx10_clamp 1
		.amdhsa_ieee_mode 1
		.amdhsa_fp16_overflow 0
		.amdhsa_workgroup_processor_mode 1
		.amdhsa_memory_ordered 1
		.amdhsa_forward_progress 0
		.amdhsa_shared_vgpr_count 0
		.amdhsa_exception_fp_ieee_invalid_op 0
		.amdhsa_exception_fp_denorm_src 0
		.amdhsa_exception_fp_ieee_div_zero 0
		.amdhsa_exception_fp_ieee_overflow 0
		.amdhsa_exception_fp_ieee_underflow 0
		.amdhsa_exception_fp_ieee_inexact 0
		.amdhsa_exception_int_div_zero 0
	.end_amdhsa_kernel
	.section	.text._Z13cross2_kernelIdiEviPT_PKS0_S3_T0_S4_S4_,"axG",@progbits,_Z13cross2_kernelIdiEviPT_PKS0_S3_T0_S4_S4_,comdat
.Lfunc_end4:
	.size	_Z13cross2_kernelIdiEviPT_PKS0_S3_T0_S4_S4_, .Lfunc_end4-_Z13cross2_kernelIdiEviPT_PKS0_S3_T0_S4_S4_
                                        ; -- End function
	.section	.AMDGPU.csdata,"",@progbits
; Kernel info:
; codeLenInByte = 496
; NumSgprs: 22
; NumVgprs: 23
; ScratchSize: 0
; MemoryBound: 0
; FloatMode: 240
; IeeeMode: 1
; LDSByteSize: 0 bytes/workgroup (compile time only)
; SGPRBlocks: 2
; VGPRBlocks: 2
; NumSGPRsForWavesPerEU: 22
; NumVGPRsForWavesPerEU: 23
; Occupancy: 16
; WaveLimiterHint : 0
; COMPUTE_PGM_RSRC2:SCRATCH_EN: 0
; COMPUTE_PGM_RSRC2:USER_SGPR: 15
; COMPUTE_PGM_RSRC2:TRAP_HANDLER: 0
; COMPUTE_PGM_RSRC2:TGID_X_EN: 1
; COMPUTE_PGM_RSRC2:TGID_Y_EN: 0
; COMPUTE_PGM_RSRC2:TGID_Z_EN: 0
; COMPUTE_PGM_RSRC2:TIDIG_COMP_CNT: 0
	.section	.text._Z13cross3_kernelIdEviPT_PKS0_S3_,"axG",@progbits,_Z13cross3_kernelIdEviPT_PKS0_S3_,comdat
	.protected	_Z13cross3_kernelIdEviPT_PKS0_S3_ ; -- Begin function _Z13cross3_kernelIdEviPT_PKS0_S3_
	.globl	_Z13cross3_kernelIdEviPT_PKS0_S3_
	.p2align	8
	.type	_Z13cross3_kernelIdEviPT_PKS0_S3_,@function
_Z13cross3_kernelIdEviPT_PKS0_S3_:      ; @_Z13cross3_kernelIdEviPT_PKS0_S3_
; %bb.0:
	s_clause 0x1
	s_load_b32 s4, s[0:1], 0x2c
	s_load_b32 s8, s[0:1], 0x0
	s_add_u32 s2, s0, 32
	s_addc_u32 s3, s1, 0
	s_waitcnt lgkmcnt(0)
	s_and_b32 s9, s4, 0xffff
	s_mov_b32 s4, exec_lo
	v_mad_u64_u32 v[1:2], null, s15, s9, v[0:1]
	s_delay_alu instid0(VALU_DEP_1)
	v_cmpx_gt_i32_e64 s8, v1
	s_cbranch_execz .LBB5_3
; %bb.1:
	s_load_b32 s10, s[2:3], 0x0
	s_clause 0x1
	s_load_b128 s[4:7], s[0:1], 0x8
	s_load_b64 s[2:3], s[0:1], 0x18
	v_lshl_add_u32 v2, v1, 1, v1
	s_waitcnt lgkmcnt(0)
	s_mul_i32 s1, s10, s9
	s_mov_b32 s10, 0
	s_mul_i32 s9, s1, 3
	s_set_inst_prefetch_distance 0x1
	.p2align	6
.LBB5_2:                                ; =>This Inner Loop Header: Depth=1
	v_ashrrev_i32_e32 v3, 31, v2
	v_add_nc_u32_e32 v1, s1, v1
	s_delay_alu instid0(VALU_DEP_2) | instskip(SKIP_1) | instid1(VALU_DEP_2)
	v_lshlrev_b64 v[13:14], 3, v[2:3]
	v_add_nc_u32_e32 v2, s9, v2
	v_add_co_u32 v3, vcc_lo, s2, v13
	s_delay_alu instid0(VALU_DEP_3)
	v_add_co_ci_u32_e32 v4, vcc_lo, s3, v14, vcc_lo
	v_add_co_u32 v7, vcc_lo, s6, v13
	v_add_co_ci_u32_e32 v8, vcc_lo, s7, v14, vcc_lo
	s_clause 0x1
	global_load_b64 v[11:12], v[3:4], off offset:16
	global_load_b128 v[3:6], v[3:4], off
	s_clause 0x1
	global_load_b64 v[15:16], v[7:8], off offset:16
	global_load_b128 v[7:10], v[7:8], off
	v_cmp_le_i32_e32 vcc_lo, s8, v1
	s_or_b32 s10, vcc_lo, s10
	s_waitcnt vmcnt(1)
	v_mul_f64 v[17:18], v[15:16], v[5:6]
	s_waitcnt vmcnt(0)
	v_mul_f64 v[19:20], v[7:8], v[11:12]
	v_mul_f64 v[21:22], v[9:10], v[3:4]
	s_delay_alu instid0(VALU_DEP_3) | instskip(NEXT) | instid1(VALU_DEP_3)
	v_fma_f64 v[9:10], v[9:10], v[11:12], -v[17:18]
	v_fma_f64 v[11:12], v[15:16], v[3:4], -v[19:20]
	s_delay_alu instid0(VALU_DEP_3) | instskip(SKIP_1) | instid1(VALU_DEP_1)
	v_fma_f64 v[3:4], v[7:8], v[5:6], -v[21:22]
	v_add_co_u32 v5, s0, s4, v13
	v_add_co_ci_u32_e64 v6, s0, s5, v14, s0
	s_clause 0x1
	global_store_b128 v[5:6], v[9:12], off
	global_store_b64 v[5:6], v[3:4], off offset:16
	s_and_not1_b32 exec_lo, exec_lo, s10
	s_cbranch_execnz .LBB5_2
.LBB5_3:
	s_set_inst_prefetch_distance 0x2
	s_nop 0
	s_sendmsg sendmsg(MSG_DEALLOC_VGPRS)
	s_endpgm
	.section	.rodata,"a",@progbits
	.p2align	6, 0x0
	.amdhsa_kernel _Z13cross3_kernelIdEviPT_PKS0_S3_
		.amdhsa_group_segment_fixed_size 0
		.amdhsa_private_segment_fixed_size 0
		.amdhsa_kernarg_size 288
		.amdhsa_user_sgpr_count 15
		.amdhsa_user_sgpr_dispatch_ptr 0
		.amdhsa_user_sgpr_queue_ptr 0
		.amdhsa_user_sgpr_kernarg_segment_ptr 1
		.amdhsa_user_sgpr_dispatch_id 0
		.amdhsa_user_sgpr_private_segment_size 0
		.amdhsa_wavefront_size32 1
		.amdhsa_uses_dynamic_stack 0
		.amdhsa_enable_private_segment 0
		.amdhsa_system_sgpr_workgroup_id_x 1
		.amdhsa_system_sgpr_workgroup_id_y 0
		.amdhsa_system_sgpr_workgroup_id_z 0
		.amdhsa_system_sgpr_workgroup_info 0
		.amdhsa_system_vgpr_workitem_id 0
		.amdhsa_next_free_vgpr 23
		.amdhsa_next_free_sgpr 16
		.amdhsa_reserve_vcc 1
		.amdhsa_float_round_mode_32 0
		.amdhsa_float_round_mode_16_64 0
		.amdhsa_float_denorm_mode_32 3
		.amdhsa_float_denorm_mode_16_64 3
		.amdhsa_dx10_clamp 1
		.amdhsa_ieee_mode 1
		.amdhsa_fp16_overflow 0
		.amdhsa_workgroup_processor_mode 1
		.amdhsa_memory_ordered 1
		.amdhsa_forward_progress 0
		.amdhsa_shared_vgpr_count 0
		.amdhsa_exception_fp_ieee_invalid_op 0
		.amdhsa_exception_fp_denorm_src 0
		.amdhsa_exception_fp_ieee_div_zero 0
		.amdhsa_exception_fp_ieee_overflow 0
		.amdhsa_exception_fp_ieee_underflow 0
		.amdhsa_exception_fp_ieee_inexact 0
		.amdhsa_exception_int_div_zero 0
	.end_amdhsa_kernel
	.section	.text._Z13cross3_kernelIdEviPT_PKS0_S3_,"axG",@progbits,_Z13cross3_kernelIdEviPT_PKS0_S3_,comdat
.Lfunc_end5:
	.size	_Z13cross3_kernelIdEviPT_PKS0_S3_, .Lfunc_end5-_Z13cross3_kernelIdEviPT_PKS0_S3_
                                        ; -- End function
	.section	.AMDGPU.csdata,"",@progbits
; Kernel info:
; codeLenInByte = 348
; NumSgprs: 18
; NumVgprs: 23
; ScratchSize: 0
; MemoryBound: 0
; FloatMode: 240
; IeeeMode: 1
; LDSByteSize: 0 bytes/workgroup (compile time only)
; SGPRBlocks: 2
; VGPRBlocks: 2
; NumSGPRsForWavesPerEU: 18
; NumVGPRsForWavesPerEU: 23
; Occupancy: 16
; WaveLimiterHint : 0
; COMPUTE_PGM_RSRC2:SCRATCH_EN: 0
; COMPUTE_PGM_RSRC2:USER_SGPR: 15
; COMPUTE_PGM_RSRC2:TRAP_HANDLER: 0
; COMPUTE_PGM_RSRC2:TGID_X_EN: 1
; COMPUTE_PGM_RSRC2:TGID_Y_EN: 0
; COMPUTE_PGM_RSRC2:TGID_Z_EN: 0
; COMPUTE_PGM_RSRC2:TIDIG_COMP_CNT: 0
	.text
	.p2alignl 7, 3214868480
	.fill 96, 4, 3214868480
	.type	__hip_cuid_f3586ef279373ee2,@object ; @__hip_cuid_f3586ef279373ee2
	.section	.bss,"aw",@nobits
	.globl	__hip_cuid_f3586ef279373ee2
__hip_cuid_f3586ef279373ee2:
	.byte	0                               ; 0x0
	.size	__hip_cuid_f3586ef279373ee2, 1

	.ident	"AMD clang version 19.0.0git (https://github.com/RadeonOpenCompute/llvm-project roc-6.4.0 25133 c7fe45cf4b819c5991fe208aaa96edf142730f1d)"
	.section	".note.GNU-stack","",@progbits
	.addrsig
	.addrsig_sym __hip_cuid_f3586ef279373ee2
	.amdgpu_metadata
---
amdhsa.kernels:
  - .args:
      - .offset:         0
        .size:           4
        .value_kind:     by_value
      - .address_space:  global
        .offset:         8
        .size:           8
        .value_kind:     global_buffer
      - .address_space:  global
        .offset:         16
        .size:           8
        .value_kind:     global_buffer
      - .address_space:  global
        .offset:         24
        .size:           8
        .value_kind:     global_buffer
      - .offset:         32
        .size:           4
        .value_kind:     by_value
      - .offset:         36
        .size:           4
        .value_kind:     by_value
      - .offset:         40
        .size:           4
        .value_kind:     by_value
      - .offset:         48
        .size:           4
        .value_kind:     hidden_block_count_x
      - .offset:         52
        .size:           4
        .value_kind:     hidden_block_count_y
      - .offset:         56
        .size:           4
        .value_kind:     hidden_block_count_z
      - .offset:         60
        .size:           2
        .value_kind:     hidden_group_size_x
      - .offset:         62
        .size:           2
        .value_kind:     hidden_group_size_y
      - .offset:         64
        .size:           2
        .value_kind:     hidden_group_size_z
      - .offset:         66
        .size:           2
        .value_kind:     hidden_remainder_x
      - .offset:         68
        .size:           2
        .value_kind:     hidden_remainder_y
      - .offset:         70
        .size:           2
        .value_kind:     hidden_remainder_z
      - .offset:         88
        .size:           8
        .value_kind:     hidden_global_offset_x
      - .offset:         96
        .size:           8
        .value_kind:     hidden_global_offset_y
      - .offset:         104
        .size:           8
        .value_kind:     hidden_global_offset_z
      - .offset:         112
        .size:           2
        .value_kind:     hidden_grid_dims
    .group_segment_fixed_size: 0
    .kernarg_segment_align: 8
    .kernarg_segment_size: 304
    .language:       OpenCL C
    .language_version:
      - 2
      - 0
    .max_flat_workgroup_size: 1024
    .name:           _Z12cross_kernelIfiEviPT_PKS0_S3_T0_S4_S4_
    .private_segment_fixed_size: 0
    .sgpr_count:     24
    .sgpr_spill_count: 0
    .symbol:         _Z12cross_kernelIfiEviPT_PKS0_S3_T0_S4_S4_.kd
    .uniform_work_group_size: 1
    .uses_dynamic_stack: false
    .vgpr_count:     17
    .vgpr_spill_count: 0
    .wavefront_size: 32
    .workgroup_processor_mode: 1
  - .args:
      - .offset:         0
        .size:           4
        .value_kind:     by_value
      - .address_space:  global
        .offset:         8
        .size:           8
        .value_kind:     global_buffer
      - .address_space:  global
        .offset:         16
        .size:           8
        .value_kind:     global_buffer
      - .address_space:  global
        .offset:         24
        .size:           8
        .value_kind:     global_buffer
      - .offset:         32
        .size:           4
        .value_kind:     by_value
      - .offset:         36
        .size:           4
        .value_kind:     by_value
      - .offset:         40
        .size:           4
        .value_kind:     by_value
      - .offset:         48
        .size:           4
        .value_kind:     hidden_block_count_x
      - .offset:         52
        .size:           4
        .value_kind:     hidden_block_count_y
      - .offset:         56
        .size:           4
        .value_kind:     hidden_block_count_z
      - .offset:         60
        .size:           2
        .value_kind:     hidden_group_size_x
      - .offset:         62
        .size:           2
        .value_kind:     hidden_group_size_y
      - .offset:         64
        .size:           2
        .value_kind:     hidden_group_size_z
      - .offset:         66
        .size:           2
        .value_kind:     hidden_remainder_x
      - .offset:         68
        .size:           2
        .value_kind:     hidden_remainder_y
      - .offset:         70
        .size:           2
        .value_kind:     hidden_remainder_z
      - .offset:         88
        .size:           8
        .value_kind:     hidden_global_offset_x
      - .offset:         96
        .size:           8
        .value_kind:     hidden_global_offset_y
      - .offset:         104
        .size:           8
        .value_kind:     hidden_global_offset_z
      - .offset:         112
        .size:           2
        .value_kind:     hidden_grid_dims
    .group_segment_fixed_size: 0
    .kernarg_segment_align: 8
    .kernarg_segment_size: 304
    .language:       OpenCL C
    .language_version:
      - 2
      - 0
    .max_flat_workgroup_size: 1024
    .name:           _Z13cross2_kernelIfiEviPT_PKS0_S3_T0_S4_S4_
    .private_segment_fixed_size: 0
    .sgpr_count:     22
    .sgpr_spill_count: 0
    .symbol:         _Z13cross2_kernelIfiEviPT_PKS0_S3_T0_S4_S4_.kd
    .uniform_work_group_size: 1
    .uses_dynamic_stack: false
    .vgpr_count:     17
    .vgpr_spill_count: 0
    .wavefront_size: 32
    .workgroup_processor_mode: 1
  - .args:
      - .offset:         0
        .size:           4
        .value_kind:     by_value
      - .address_space:  global
        .offset:         8
        .size:           8
        .value_kind:     global_buffer
      - .address_space:  global
        .offset:         16
        .size:           8
        .value_kind:     global_buffer
      - .address_space:  global
        .offset:         24
        .size:           8
        .value_kind:     global_buffer
      - .offset:         32
        .size:           4
        .value_kind:     hidden_block_count_x
      - .offset:         36
        .size:           4
        .value_kind:     hidden_block_count_y
      - .offset:         40
        .size:           4
        .value_kind:     hidden_block_count_z
      - .offset:         44
        .size:           2
        .value_kind:     hidden_group_size_x
      - .offset:         46
        .size:           2
        .value_kind:     hidden_group_size_y
      - .offset:         48
        .size:           2
        .value_kind:     hidden_group_size_z
      - .offset:         50
        .size:           2
        .value_kind:     hidden_remainder_x
      - .offset:         52
        .size:           2
        .value_kind:     hidden_remainder_y
      - .offset:         54
        .size:           2
        .value_kind:     hidden_remainder_z
      - .offset:         72
        .size:           8
        .value_kind:     hidden_global_offset_x
      - .offset:         80
        .size:           8
        .value_kind:     hidden_global_offset_y
      - .offset:         88
        .size:           8
        .value_kind:     hidden_global_offset_z
      - .offset:         96
        .size:           2
        .value_kind:     hidden_grid_dims
    .group_segment_fixed_size: 0
    .kernarg_segment_align: 8
    .kernarg_segment_size: 288
    .language:       OpenCL C
    .language_version:
      - 2
      - 0
    .max_flat_workgroup_size: 1024
    .name:           _Z13cross3_kernelIfEviPT_PKS0_S3_
    .private_segment_fixed_size: 0
    .sgpr_count:     18
    .sgpr_spill_count: 0
    .symbol:         _Z13cross3_kernelIfEviPT_PKS0_S3_.kd
    .uniform_work_group_size: 1
    .uses_dynamic_stack: false
    .vgpr_count:     13
    .vgpr_spill_count: 0
    .wavefront_size: 32
    .workgroup_processor_mode: 1
  - .args:
      - .offset:         0
        .size:           4
        .value_kind:     by_value
      - .address_space:  global
        .offset:         8
        .size:           8
        .value_kind:     global_buffer
      - .address_space:  global
        .offset:         16
        .size:           8
        .value_kind:     global_buffer
      - .address_space:  global
        .offset:         24
        .size:           8
        .value_kind:     global_buffer
      - .offset:         32
        .size:           4
        .value_kind:     by_value
      - .offset:         36
        .size:           4
        .value_kind:     by_value
      - .offset:         40
        .size:           4
        .value_kind:     by_value
      - .offset:         48
        .size:           4
        .value_kind:     hidden_block_count_x
      - .offset:         52
        .size:           4
        .value_kind:     hidden_block_count_y
      - .offset:         56
        .size:           4
        .value_kind:     hidden_block_count_z
      - .offset:         60
        .size:           2
        .value_kind:     hidden_group_size_x
      - .offset:         62
        .size:           2
        .value_kind:     hidden_group_size_y
      - .offset:         64
        .size:           2
        .value_kind:     hidden_group_size_z
      - .offset:         66
        .size:           2
        .value_kind:     hidden_remainder_x
      - .offset:         68
        .size:           2
        .value_kind:     hidden_remainder_y
      - .offset:         70
        .size:           2
        .value_kind:     hidden_remainder_z
      - .offset:         88
        .size:           8
        .value_kind:     hidden_global_offset_x
      - .offset:         96
        .size:           8
        .value_kind:     hidden_global_offset_y
      - .offset:         104
        .size:           8
        .value_kind:     hidden_global_offset_z
      - .offset:         112
        .size:           2
        .value_kind:     hidden_grid_dims
    .group_segment_fixed_size: 0
    .kernarg_segment_align: 8
    .kernarg_segment_size: 304
    .language:       OpenCL C
    .language_version:
      - 2
      - 0
    .max_flat_workgroup_size: 1024
    .name:           _Z12cross_kernelIdiEviPT_PKS0_S3_T0_S4_S4_
    .private_segment_fixed_size: 0
    .sgpr_count:     24
    .sgpr_spill_count: 0
    .symbol:         _Z12cross_kernelIdiEviPT_PKS0_S3_T0_S4_S4_.kd
    .uniform_work_group_size: 1
    .uses_dynamic_stack: false
    .vgpr_count:     23
    .vgpr_spill_count: 0
    .wavefront_size: 32
    .workgroup_processor_mode: 1
  - .args:
      - .offset:         0
        .size:           4
        .value_kind:     by_value
      - .address_space:  global
        .offset:         8
        .size:           8
        .value_kind:     global_buffer
      - .address_space:  global
        .offset:         16
        .size:           8
        .value_kind:     global_buffer
      - .address_space:  global
        .offset:         24
        .size:           8
        .value_kind:     global_buffer
      - .offset:         32
        .size:           4
        .value_kind:     by_value
      - .offset:         36
        .size:           4
        .value_kind:     by_value
      - .offset:         40
        .size:           4
        .value_kind:     by_value
      - .offset:         48
        .size:           4
        .value_kind:     hidden_block_count_x
      - .offset:         52
        .size:           4
        .value_kind:     hidden_block_count_y
      - .offset:         56
        .size:           4
        .value_kind:     hidden_block_count_z
      - .offset:         60
        .size:           2
        .value_kind:     hidden_group_size_x
      - .offset:         62
        .size:           2
        .value_kind:     hidden_group_size_y
      - .offset:         64
        .size:           2
        .value_kind:     hidden_group_size_z
      - .offset:         66
        .size:           2
        .value_kind:     hidden_remainder_x
      - .offset:         68
        .size:           2
        .value_kind:     hidden_remainder_y
      - .offset:         70
        .size:           2
        .value_kind:     hidden_remainder_z
      - .offset:         88
        .size:           8
        .value_kind:     hidden_global_offset_x
      - .offset:         96
        .size:           8
        .value_kind:     hidden_global_offset_y
      - .offset:         104
        .size:           8
        .value_kind:     hidden_global_offset_z
      - .offset:         112
        .size:           2
        .value_kind:     hidden_grid_dims
    .group_segment_fixed_size: 0
    .kernarg_segment_align: 8
    .kernarg_segment_size: 304
    .language:       OpenCL C
    .language_version:
      - 2
      - 0
    .max_flat_workgroup_size: 1024
    .name:           _Z13cross2_kernelIdiEviPT_PKS0_S3_T0_S4_S4_
    .private_segment_fixed_size: 0
    .sgpr_count:     22
    .sgpr_spill_count: 0
    .symbol:         _Z13cross2_kernelIdiEviPT_PKS0_S3_T0_S4_S4_.kd
    .uniform_work_group_size: 1
    .uses_dynamic_stack: false
    .vgpr_count:     23
    .vgpr_spill_count: 0
    .wavefront_size: 32
    .workgroup_processor_mode: 1
  - .args:
      - .offset:         0
        .size:           4
        .value_kind:     by_value
      - .address_space:  global
        .offset:         8
        .size:           8
        .value_kind:     global_buffer
      - .address_space:  global
        .offset:         16
        .size:           8
        .value_kind:     global_buffer
      - .address_space:  global
        .offset:         24
        .size:           8
        .value_kind:     global_buffer
      - .offset:         32
        .size:           4
        .value_kind:     hidden_block_count_x
      - .offset:         36
        .size:           4
        .value_kind:     hidden_block_count_y
      - .offset:         40
        .size:           4
        .value_kind:     hidden_block_count_z
      - .offset:         44
        .size:           2
        .value_kind:     hidden_group_size_x
      - .offset:         46
        .size:           2
        .value_kind:     hidden_group_size_y
      - .offset:         48
        .size:           2
        .value_kind:     hidden_group_size_z
      - .offset:         50
        .size:           2
        .value_kind:     hidden_remainder_x
      - .offset:         52
        .size:           2
        .value_kind:     hidden_remainder_y
      - .offset:         54
        .size:           2
        .value_kind:     hidden_remainder_z
      - .offset:         72
        .size:           8
        .value_kind:     hidden_global_offset_x
      - .offset:         80
        .size:           8
        .value_kind:     hidden_global_offset_y
      - .offset:         88
        .size:           8
        .value_kind:     hidden_global_offset_z
      - .offset:         96
        .size:           2
        .value_kind:     hidden_grid_dims
    .group_segment_fixed_size: 0
    .kernarg_segment_align: 8
    .kernarg_segment_size: 288
    .language:       OpenCL C
    .language_version:
      - 2
      - 0
    .max_flat_workgroup_size: 1024
    .name:           _Z13cross3_kernelIdEviPT_PKS0_S3_
    .private_segment_fixed_size: 0
    .sgpr_count:     18
    .sgpr_spill_count: 0
    .symbol:         _Z13cross3_kernelIdEviPT_PKS0_S3_.kd
    .uniform_work_group_size: 1
    .uses_dynamic_stack: false
    .vgpr_count:     23
    .vgpr_spill_count: 0
    .wavefront_size: 32
    .workgroup_processor_mode: 1
amdhsa.target:   amdgcn-amd-amdhsa--gfx1100
amdhsa.version:
  - 1
  - 2
...

	.end_amdgpu_metadata
